;; amdgpu-corpus repo=zjin-lcf/HeCBench kind=compiled arch=gfx1250 opt=O3
	.amdgcn_target "amdgcn-amd-amdhsa--gfx1250"
	.amdhsa_code_object_version 6
	.text
	.protected	_Z15smoothingFilteriiiiPKfPiPf ; -- Begin function _Z15smoothingFilteriiiiPKfPiPf
	.globl	_Z15smoothingFilteriiiiPKfPiPf
	.p2align	8
	.type	_Z15smoothingFilteriiiiPKfPiPf,@function
_Z15smoothingFilteriiiiPKfPiPf:         ; @_Z15smoothingFilteriiiiPKfPiPf
; %bb.0:
	s_load_b32 s2, s[0:1], 0x34
	s_bfe_u32 s8, ttmp6, 0x4000c
	s_bfe_u32 s9, ttmp6, 0x40010
	s_clause 0x1
	s_load_b128 s[4:7], s[0:1], 0x0
	s_load_b64 s[12:13], s[0:1], 0x10
	s_add_co_i32 s8, s8, 1
	s_add_co_i32 s9, s9, 1
	s_and_b32 s3, ttmp6, 15
	s_bfe_u32 s10, ttmp6, 0x40004
	s_mul_i32 s8, ttmp9, s8
	s_mul_i32 s9, ttmp7, s9
	s_getreg_b32 s11, hwreg(HW_REG_IB_STS2, 6, 4)
	v_bfe_u32 v3, v0, 10, 10
	s_add_co_i32 s3, s3, s8
	s_add_co_i32 s10, s10, s9
	v_and_b32_e32 v1, 0x3ff, v0
	s_wait_kmcnt 0x0
	s_lshr_b32 s15, s2, 16
	s_and_b32 s16, s2, 0xffff
	s_cmp_eq_u32 s11, 0
	v_mad_u32_u24 v5, v3, s16, v1
	s_cselect_b32 s2, ttmp7, s10
	s_cselect_b32 s14, ttmp9, s3
	v_mad_u32 v2, s2, s15, v3
	s_mul_i32 s14, s14, s16
	s_delay_alu instid0(SALU_CYCLE_1) | instskip(NEXT) | instid1(VALU_DEP_1)
	v_add_nc_u32_e32 v4, s14, v1
	v_cmp_gt_i32_e32 vcc_lo, s4, v4
	s_delay_alu instid0(VALU_DEP_3) | instskip(SKIP_2) | instid1(SALU_CYCLE_1)
	v_mad_u32 v0, v2, s4, v4
	v_cmp_gt_i32_e64 s2, s5, v2
	s_and_b32 s2, vcc_lo, s2
	s_and_saveexec_b32 s3, s2
	s_cbranch_execz .LBB0_2
; %bb.1:
	global_load_b32 v6, v0, s[12:13] scale_offset
	v_lshlrev_b32_e32 v7, 2, v5
	s_wait_loadcnt 0x0
	ds_store_b32 v7, v6
.LBB0_2:
	s_or_b32 exec_lo, exec_lo, s3
	s_wait_dscnt 0x0
	s_barrier_signal -1
	s_barrier_wait -1
	s_and_saveexec_b32 s3, s2
	s_cbranch_execz .LBB0_24
; %bb.3:
	s_load_b128 s[8:11], s[0:1], 0x18
	s_cmp_lt_i32 s6, 1
	s_mov_b32 s18, 1
	s_wait_xcnt 0x0
	s_cselect_b32 s0, -1, 0
	s_cmp_lt_i32 s7, 2
	s_mov_b32 s17, 2
	s_cselect_b32 s1, -1, 0
	s_delay_alu instid0(SALU_CYCLE_1) | instskip(NEXT) | instid1(SALU_CYCLE_1)
	s_or_b32 s0, s0, s1
	s_and_b32 vcc_lo, exec_lo, s0
	s_cbranch_vccnz .LBB0_16
; %bb.4:
	v_dual_add_nc_u32 v6, -1, v2 :: v_dual_lshlrev_b32 v5, 2, v5
	s_lshl_b32 s19, s16, 2
	v_min_u32_e32 v9, v1, v3
	s_cvt_f32_i32 s6, s6
	s_delay_alu instid0(VALU_DEP_2)
	v_mad_u32 v8, s4, v6, v1
	v_subrev_nc_u32_e32 v5, s19, v5
	v_min_i32_e32 v6, v4, v2
	s_not_b32 s20, s4
	s_xor_b32 s21, s19, -4
	s_mov_b32 s23, 3
	v_add_nc_u32_e32 v7, -4, v5
	s_mov_b32 s22, 0
	s_delay_alu instid0(VALU_DEP_4)
	v_add3_u32 v8, v8, s14, -1
	s_branch .LBB0_6
.LBB0_5:                                ;   in Loop: Header=BB0_6 Depth=1
	s_add_co_i32 s0, s18, 1
	v_cmp_ngt_f32_e32 vcc_lo, s6, v10
	s_cmp_ge_i32 s0, s7
	v_dual_add_nc_u32 v8, s20, v8 :: v_dual_add_nc_u32 v7, s21, v7
	s_cselect_b32 s1, -1, 0
	s_add_co_i32 s17, s17, 1
	s_or_b32 s1, vcc_lo, s1
	s_add_co_i32 s23, s23, 2
	v_mov_b32_e32 v10, s18
	s_and_b32 s1, exec_lo, s1
	s_mov_b32 s18, s0
	s_or_b32 s22, s1, s22
	s_delay_alu instid0(SALU_CYCLE_1)
	s_and_not1_b32 exec_lo, exec_lo, s22
	s_cbranch_execz .LBB0_17
.LBB0_6:                                ; =>This Loop Header: Depth=1
                                        ;     Child Loop BB0_8 Depth 2
                                        ;       Child Loop BB0_11 Depth 3
	v_dual_add_nc_u32 v5, s18, v4 :: v_dual_add_nc_u32 v10, s18, v2
	v_dual_add_nc_u32 v11, s18, v1 :: v_dual_add_nc_u32 v12, s18, v3
	v_cmp_le_i32_e64 s1, s18, v6
	s_delay_alu instid0(VALU_DEP_3) | instskip(NEXT) | instid1(VALU_DEP_4)
	v_cmp_gt_i32_e32 vcc_lo, s5, v5
	v_cmp_gt_i32_e64 s0, s4, v10
	s_delay_alu instid0(VALU_DEP_4)
	v_cmp_gt_u32_e64 s2, s16, v11
	v_cmp_gt_u32_e64 s3, s15, v12
	v_dual_mov_b32 v10, 0 :: v_dual_mov_b32 v5, 0
	s_and_b32 s0, vcc_lo, s0
	v_cmp_le_u32_e32 vcc_lo, s18, v9
	v_dual_mov_b32 v11, v7 :: v_dual_mov_b32 v12, v8
	s_and_b32 s2, s2, s3
	s_sub_co_i32 s24, 0, s18
	s_and_b32 s0, s0, s1
	s_and_b32 s1, s2, vcc_lo
	s_branch .LBB0_8
.LBB0_7:                                ;   in Loop: Header=BB0_8 Depth=2
	v_dual_add_nc_u32 v12, s4, v12 :: v_dual_add_nc_u32 v11, s19, v11
	s_add_co_i32 s24, s24, 1
	s_delay_alu instid0(SALU_CYCLE_1)
	s_cmp_eq_u32 s24, s17
	s_cbranch_scc1 .LBB0_5
.LBB0_8:                                ;   Parent Loop BB0_6 Depth=1
                                        ; =>  This Loop Header: Depth=2
                                        ;       Child Loop BB0_11 Depth 3
	s_delay_alu instid0(VALU_DEP_1)
	v_dual_mov_b32 v13, v11 :: v_dual_mov_b32 v14, v12
	s_mov_b32 s2, s23
	s_branch .LBB0_11
.LBB0_9:                                ;   in Loop: Header=BB0_11 Depth=3
	s_or_b32 exec_lo, exec_lo, s25
	v_add_nc_u32_e32 v5, 1, v5
.LBB0_10:                               ;   in Loop: Header=BB0_11 Depth=3
	s_or_b32 exec_lo, exec_lo, s3
	v_dual_add_nc_u32 v14, 1, v14 :: v_dual_add_nc_u32 v13, 4, v13
	s_add_co_i32 s2, s2, -1
	s_delay_alu instid0(SALU_CYCLE_1)
	s_cmp_eq_u32 s2, 0
	s_cbranch_scc1 .LBB0_7
.LBB0_11:                               ;   Parent Loop BB0_6 Depth=1
                                        ;     Parent Loop BB0_8 Depth=2
                                        ; =>    This Inner Loop Header: Depth=3
	s_and_saveexec_b32 s3, s0
	s_cbranch_execz .LBB0_10
; %bb.12:                               ;   in Loop: Header=BB0_11 Depth=3
	s_and_saveexec_b32 s25, s1
	s_delay_alu instid0(SALU_CYCLE_1)
	s_xor_b32 s25, exec_lo, s25
	s_cbranch_execz .LBB0_14
; %bb.13:                               ;   in Loop: Header=BB0_11 Depth=3
	ds_load_b32 v15, v13
	s_wait_dscnt 0x0
	v_add_f32_e32 v10, v10, v15
.LBB0_14:                               ;   in Loop: Header=BB0_11 Depth=3
	s_and_not1_saveexec_b32 s25, s25
	s_cbranch_execz .LBB0_9
; %bb.15:                               ;   in Loop: Header=BB0_11 Depth=3
	global_load_b32 v15, v14, s[12:13] scale_offset
	s_wait_loadcnt 0x0
	v_add_f32_e32 v10, v10, v15
	s_branch .LBB0_9
.LBB0_16:
	v_dual_mov_b32 v10, 1 :: v_dual_mov_b32 v5, 0
	s_branch .LBB0_18
.LBB0_17:
	s_or_b32 exec_lo, exec_lo, s22
.LBB0_18:
	s_delay_alu instid0(VALU_DEP_1)
	v_cvt_f32_i32_e32 v3, v5
	s_mov_b32 s1, 0
	s_wait_kmcnt 0x0
	global_store_b32 v0, v10, s[8:9] scale_offset
	v_div_scale_f32 v4, null, v3, v3, 1.0
	v_div_scale_f32 v8, vcc_lo, 1.0, v3, 1.0
	s_delay_alu instid0(VALU_DEP_2) | instskip(SKIP_1) | instid1(TRANS32_DEP_1)
	v_rcp_f32_e32 v6, v4
	v_nop
	v_fma_f32 v7, -v4, v6, 1.0
	s_delay_alu instid0(VALU_DEP_1) | instskip(NEXT) | instid1(VALU_DEP_1)
	v_fmac_f32_e32 v6, v7, v6
	v_mul_f32_e32 v7, v8, v6
	s_delay_alu instid0(VALU_DEP_1) | instskip(NEXT) | instid1(VALU_DEP_1)
	v_fma_f32 v9, -v4, v7, v8
	v_fmac_f32_e32 v7, v9, v6
	s_delay_alu instid0(VALU_DEP_1) | instskip(NEXT) | instid1(VALU_DEP_1)
	v_dual_sub_nc_u32 v2, v2, v10 :: v_dual_fma_f32 v4, -v4, v7, v8
	v_mul_lo_u32 v2, s4, v2
	s_delay_alu instid0(VALU_DEP_2) | instskip(SKIP_1) | instid1(VALU_DEP_3)
	v_div_fmas_f32 v6, v4, v6, v7
	v_cmp_ne_u32_e32 vcc_lo, 0, v5
	v_add3_u32 v7, v1, v2, s14
	v_sub_nc_u32_e32 v4, 0, v10
	v_lshl_or_b32 v1, v10, 1, 1
	v_div_fixup_f32 v2, v6, v3, 1.0
	s_delay_alu instid0(VALU_DEP_4)
	v_sub_nc_u32_e32 v3, v7, v10
	s_branch .LBB0_20
.LBB0_19:                               ;   in Loop: Header=BB0_20 Depth=1
	s_or_b32 exec_lo, exec_lo, s2
	v_dual_add_nc_u32 v0, 1, v4 :: v_dual_add_nc_u32 v3, s4, v3
	v_cmp_eq_u32_e64 s0, v4, v10
	s_delay_alu instid0(VALU_DEP_2) | instskip(SKIP_1) | instid1(SALU_CYCLE_1)
	v_mov_b32_e32 v4, v0
	s_or_b32 s1, s0, s1
	s_and_not1_b32 exec_lo, exec_lo, s1
	s_cbranch_execz .LBB0_24
.LBB0_20:                               ; =>This Loop Header: Depth=1
                                        ;     Child Loop BB0_22 Depth 2
	s_wait_xcnt 0x0
	s_delay_alu instid0(VALU_DEP_1)
	v_dual_mov_b32 v0, v3 :: v_dual_mov_b32 v5, v1
	s_mov_b32 s2, 0
	s_branch .LBB0_22
.LBB0_21:                               ;   in Loop: Header=BB0_22 Depth=2
	s_wait_xcnt 0x0
	s_or_b32 exec_lo, exec_lo, s0
	v_dual_add_nc_u32 v5, -1, v5 :: v_dual_add_nc_u32 v0, 1, v0
	s_delay_alu instid0(VALU_DEP_1) | instskip(SKIP_1) | instid1(SALU_CYCLE_1)
	v_cmp_eq_u32_e64 s0, 0, v5
	s_or_b32 s2, s0, s2
	s_and_not1_b32 exec_lo, exec_lo, s2
	s_cbranch_execz .LBB0_19
.LBB0_22:                               ;   Parent Loop BB0_20 Depth=1
                                        ; =>  This Inner Loop Header: Depth=2
	s_and_saveexec_b32 s0, vcc_lo
	s_cbranch_execz .LBB0_21
; %bb.23:                               ;   in Loop: Header=BB0_22 Depth=2
	global_atomic_add_f32 v0, v2, s[10:11] scale_offset scope:SCOPE_DEV
	s_branch .LBB0_21
.LBB0_24:
	s_endpgm
	.section	.rodata,"a",@progbits
	.p2align	6, 0x0
	.amdhsa_kernel _Z15smoothingFilteriiiiPKfPiPf
		.amdhsa_group_segment_fixed_size 4096
		.amdhsa_private_segment_fixed_size 0
		.amdhsa_kernarg_size 296
		.amdhsa_user_sgpr_count 2
		.amdhsa_user_sgpr_dispatch_ptr 0
		.amdhsa_user_sgpr_queue_ptr 0
		.amdhsa_user_sgpr_kernarg_segment_ptr 1
		.amdhsa_user_sgpr_dispatch_id 0
		.amdhsa_user_sgpr_kernarg_preload_length 0
		.amdhsa_user_sgpr_kernarg_preload_offset 0
		.amdhsa_user_sgpr_private_segment_size 0
		.amdhsa_wavefront_size32 1
		.amdhsa_uses_dynamic_stack 0
		.amdhsa_enable_private_segment 0
		.amdhsa_system_sgpr_workgroup_id_x 1
		.amdhsa_system_sgpr_workgroup_id_y 1
		.amdhsa_system_sgpr_workgroup_id_z 0
		.amdhsa_system_sgpr_workgroup_info 0
		.amdhsa_system_vgpr_workitem_id 1
		.amdhsa_next_free_vgpr 16
		.amdhsa_next_free_sgpr 26
		.amdhsa_named_barrier_count 0
		.amdhsa_reserve_vcc 1
		.amdhsa_float_round_mode_32 0
		.amdhsa_float_round_mode_16_64 0
		.amdhsa_float_denorm_mode_32 3
		.amdhsa_float_denorm_mode_16_64 3
		.amdhsa_fp16_overflow 0
		.amdhsa_memory_ordered 1
		.amdhsa_forward_progress 1
		.amdhsa_inst_pref_size 9
		.amdhsa_round_robin_scheduling 0
		.amdhsa_exception_fp_ieee_invalid_op 0
		.amdhsa_exception_fp_denorm_src 0
		.amdhsa_exception_fp_ieee_div_zero 0
		.amdhsa_exception_fp_ieee_overflow 0
		.amdhsa_exception_fp_ieee_underflow 0
		.amdhsa_exception_fp_ieee_inexact 0
		.amdhsa_exception_int_div_zero 0
	.end_amdhsa_kernel
	.text
.Lfunc_end0:
	.size	_Z15smoothingFilteriiiiPKfPiPf, .Lfunc_end0-_Z15smoothingFilteriiiiPKfPiPf
                                        ; -- End function
	.set _Z15smoothingFilteriiiiPKfPiPf.num_vgpr, 16
	.set _Z15smoothingFilteriiiiPKfPiPf.num_agpr, 0
	.set _Z15smoothingFilteriiiiPKfPiPf.numbered_sgpr, 26
	.set _Z15smoothingFilteriiiiPKfPiPf.num_named_barrier, 0
	.set _Z15smoothingFilteriiiiPKfPiPf.private_seg_size, 0
	.set _Z15smoothingFilteriiiiPKfPiPf.uses_vcc, 1
	.set _Z15smoothingFilteriiiiPKfPiPf.uses_flat_scratch, 0
	.set _Z15smoothingFilteriiiiPKfPiPf.has_dyn_sized_stack, 0
	.set _Z15smoothingFilteriiiiPKfPiPf.has_recursion, 0
	.set _Z15smoothingFilteriiiiPKfPiPf.has_indirect_call, 0
	.section	.AMDGPU.csdata,"",@progbits
; Kernel info:
; codeLenInByte = 1044
; TotalNumSgprs: 28
; NumVgprs: 16
; ScratchSize: 0
; MemoryBound: 0
; FloatMode: 240
; IeeeMode: 1
; LDSByteSize: 4096 bytes/workgroup (compile time only)
; SGPRBlocks: 0
; VGPRBlocks: 0
; NumSGPRsForWavesPerEU: 28
; NumVGPRsForWavesPerEU: 16
; NamedBarCnt: 0
; Occupancy: 16
; WaveLimiterHint : 0
; COMPUTE_PGM_RSRC2:SCRATCH_EN: 0
; COMPUTE_PGM_RSRC2:USER_SGPR: 2
; COMPUTE_PGM_RSRC2:TRAP_HANDLER: 0
; COMPUTE_PGM_RSRC2:TGID_X_EN: 1
; COMPUTE_PGM_RSRC2:TGID_Y_EN: 1
; COMPUTE_PGM_RSRC2:TGID_Z_EN: 0
; COMPUTE_PGM_RSRC2:TIDIG_COMP_CNT: 1
	.text
	.protected	_Z15normalizeFilteriiPfPKf ; -- Begin function _Z15normalizeFilteriiPfPKf
	.globl	_Z15normalizeFilteriiPfPKf
	.p2align	8
	.type	_Z15normalizeFilteriiPfPKf,@function
_Z15normalizeFilteriiPfPKf:             ; @_Z15normalizeFilteriiPfPKf
; %bb.0:
	s_clause 0x1
	s_load_b32 s2, s[0:1], 0x24
	s_load_b64 s[4:5], s[0:1], 0x0
	s_bfe_u32 s6, ttmp6, 0x4000c
	s_bfe_u32 s7, ttmp6, 0x40010
	s_add_co_i32 s6, s6, 1
	s_add_co_i32 s7, s7, 1
	s_and_b32 s3, ttmp6, 15
	s_bfe_u32 s8, ttmp6, 0x40004
	s_mul_i32 s6, ttmp9, s6
	s_mul_i32 s7, ttmp7, s7
	s_getreg_b32 s9, hwreg(HW_REG_IB_STS2, 6, 4)
	v_and_b32_e32 v1, 0x3ff, v0
	v_bfe_u32 v2, v0, 10, 10
	s_add_co_i32 s3, s3, s6
	s_add_co_i32 s8, s8, s7
	s_wait_kmcnt 0x0
	s_lshr_b32 s6, s2, 16
	s_and_b32 s2, s2, 0xffff
	s_cmp_eq_u32 s9, 0
	s_cselect_b32 s3, ttmp9, s3
	s_cselect_b32 s7, ttmp7, s8
	v_mad_u32 v0, s3, s2, v1
	v_mad_u32 v1, s7, s6, v2
	s_delay_alu instid0(VALU_DEP_2) | instskip(NEXT) | instid1(VALU_DEP_2)
	v_cmp_gt_i32_e32 vcc_lo, s4, v0
	v_cmp_gt_i32_e64 s2, s5, v1
	s_and_b32 s2, vcc_lo, s2
	s_delay_alu instid0(SALU_CYCLE_1)
	s_and_saveexec_b32 s3, s2
	s_cbranch_execz .LBB1_3
; %bb.1:
	s_load_b64 s[2:3], s[0:1], 0x10
	v_mad_u32 v0, v1, s4, v0
	s_wait_kmcnt 0x0
	global_load_b32 v2, v0, s[2:3] scale_offset
	s_wait_loadcnt 0x0
	v_cmp_neq_f32_e32 vcc_lo, 0, v2
	s_and_b32 exec_lo, exec_lo, vcc_lo
	s_cbranch_execz .LBB1_3
; %bb.2:
	s_load_b64 s[0:1], s[0:1], 0x8
	v_ashrrev_i32_e32 v1, 31, v0
	s_wait_kmcnt 0x0
	s_delay_alu instid0(VALU_DEP_1) | instskip(SKIP_3) | instid1(VALU_DEP_1)
	v_lshl_add_u64 v[0:1], v[0:1], 2, s[0:1]
	global_load_b32 v3, v[0:1], off
	s_wait_loadcnt 0x0
	v_div_scale_f32 v4, null, v2, v2, v3
	v_rcp_f32_e32 v5, v4
	v_nop
	s_delay_alu instid0(TRANS32_DEP_1) | instskip(NEXT) | instid1(VALU_DEP_1)
	v_fma_f32 v6, -v4, v5, 1.0
	v_fmac_f32_e32 v5, v6, v5
	v_div_scale_f32 v6, vcc_lo, v3, v2, v3
	s_delay_alu instid0(VALU_DEP_1) | instskip(NEXT) | instid1(VALU_DEP_1)
	v_mul_f32_e32 v7, v6, v5
	v_fma_f32 v8, -v4, v7, v6
	s_delay_alu instid0(VALU_DEP_1) | instskip(NEXT) | instid1(VALU_DEP_1)
	v_fmac_f32_e32 v7, v8, v5
	v_fma_f32 v4, -v4, v7, v6
	s_delay_alu instid0(VALU_DEP_1) | instskip(NEXT) | instid1(VALU_DEP_1)
	v_div_fmas_f32 v4, v4, v5, v7
	v_div_fixup_f32 v2, v4, v2, v3
	global_store_b32 v[0:1], v2, off
.LBB1_3:
	s_endpgm
	.section	.rodata,"a",@progbits
	.p2align	6, 0x0
	.amdhsa_kernel _Z15normalizeFilteriiPfPKf
		.amdhsa_group_segment_fixed_size 0
		.amdhsa_private_segment_fixed_size 0
		.amdhsa_kernarg_size 280
		.amdhsa_user_sgpr_count 2
		.amdhsa_user_sgpr_dispatch_ptr 0
		.amdhsa_user_sgpr_queue_ptr 0
		.amdhsa_user_sgpr_kernarg_segment_ptr 1
		.amdhsa_user_sgpr_dispatch_id 0
		.amdhsa_user_sgpr_kernarg_preload_length 0
		.amdhsa_user_sgpr_kernarg_preload_offset 0
		.amdhsa_user_sgpr_private_segment_size 0
		.amdhsa_wavefront_size32 1
		.amdhsa_uses_dynamic_stack 0
		.amdhsa_enable_private_segment 0
		.amdhsa_system_sgpr_workgroup_id_x 1
		.amdhsa_system_sgpr_workgroup_id_y 1
		.amdhsa_system_sgpr_workgroup_id_z 0
		.amdhsa_system_sgpr_workgroup_info 0
		.amdhsa_system_vgpr_workitem_id 1
		.amdhsa_next_free_vgpr 9
		.amdhsa_next_free_sgpr 10
		.amdhsa_named_barrier_count 0
		.amdhsa_reserve_vcc 1
		.amdhsa_float_round_mode_32 0
		.amdhsa_float_round_mode_16_64 0
		.amdhsa_float_denorm_mode_32 3
		.amdhsa_float_denorm_mode_16_64 3
		.amdhsa_fp16_overflow 0
		.amdhsa_memory_ordered 1
		.amdhsa_forward_progress 1
		.amdhsa_inst_pref_size 3
		.amdhsa_round_robin_scheduling 0
		.amdhsa_exception_fp_ieee_invalid_op 0
		.amdhsa_exception_fp_denorm_src 0
		.amdhsa_exception_fp_ieee_div_zero 0
		.amdhsa_exception_fp_ieee_overflow 0
		.amdhsa_exception_fp_ieee_underflow 0
		.amdhsa_exception_fp_ieee_inexact 0
		.amdhsa_exception_int_div_zero 0
	.end_amdhsa_kernel
	.text
.Lfunc_end1:
	.size	_Z15normalizeFilteriiPfPKf, .Lfunc_end1-_Z15normalizeFilteriiPfPKf
                                        ; -- End function
	.set _Z15normalizeFilteriiPfPKf.num_vgpr, 9
	.set _Z15normalizeFilteriiPfPKf.num_agpr, 0
	.set _Z15normalizeFilteriiPfPKf.numbered_sgpr, 10
	.set _Z15normalizeFilteriiPfPKf.num_named_barrier, 0
	.set _Z15normalizeFilteriiPfPKf.private_seg_size, 0
	.set _Z15normalizeFilteriiPfPKf.uses_vcc, 1
	.set _Z15normalizeFilteriiPfPKf.uses_flat_scratch, 0
	.set _Z15normalizeFilteriiPfPKf.has_dyn_sized_stack, 0
	.set _Z15normalizeFilteriiPfPKf.has_recursion, 0
	.set _Z15normalizeFilteriiPfPKf.has_indirect_call, 0
	.section	.AMDGPU.csdata,"",@progbits
; Kernel info:
; codeLenInByte = 368
; TotalNumSgprs: 12
; NumVgprs: 9
; ScratchSize: 0
; MemoryBound: 0
; FloatMode: 240
; IeeeMode: 1
; LDSByteSize: 0 bytes/workgroup (compile time only)
; SGPRBlocks: 0
; VGPRBlocks: 0
; NumSGPRsForWavesPerEU: 12
; NumVGPRsForWavesPerEU: 9
; NamedBarCnt: 0
; Occupancy: 16
; WaveLimiterHint : 0
; COMPUTE_PGM_RSRC2:SCRATCH_EN: 0
; COMPUTE_PGM_RSRC2:USER_SGPR: 2
; COMPUTE_PGM_RSRC2:TRAP_HANDLER: 0
; COMPUTE_PGM_RSRC2:TGID_X_EN: 1
; COMPUTE_PGM_RSRC2:TGID_Y_EN: 1
; COMPUTE_PGM_RSRC2:TGID_Z_EN: 0
; COMPUTE_PGM_RSRC2:TIDIG_COMP_CNT: 1
	.text
	.protected	_Z9outFilteriiPKfPKiPf  ; -- Begin function _Z9outFilteriiPKfPKiPf
	.globl	_Z9outFilteriiPKfPKiPf
	.p2align	8
	.type	_Z9outFilteriiPKfPKiPf,@function
_Z9outFilteriiPKfPKiPf:                 ; @_Z9outFilteriiPKfPKiPf
; %bb.0:
	s_clause 0x1
	s_load_b32 s2, s[0:1], 0x2c
	s_load_b128 s[8:11], s[0:1], 0x0
	s_bfe_u32 s4, ttmp6, 0x4000c
	s_bfe_u32 s5, ttmp6, 0x40010
	s_add_co_i32 s4, s4, 1
	s_add_co_i32 s5, s5, 1
	s_and_b32 s3, ttmp6, 15
	s_bfe_u32 s6, ttmp6, 0x40004
	s_mul_i32 s4, ttmp9, s4
	s_mul_i32 s5, ttmp7, s5
	s_getreg_b32 s7, hwreg(HW_REG_IB_STS2, 6, 4)
	v_bfe_u32 v6, v0, 10, 10
	s_add_co_i32 s3, s3, s4
	s_add_co_i32 s6, s6, s5
	v_and_b32_e32 v7, 0x3ff, v0
	s_wait_kmcnt 0x0
	s_lshr_b32 s12, s2, 16
	s_and_b32 s4, s2, 0xffff
	s_cmp_eq_u32 s7, 0
	v_mad_u32_u24 v9, v6, s4, v7
	s_cselect_b32 s2, ttmp7, s6
	s_cselect_b32 s13, ttmp9, s3
	v_mad_u32 v5, s2, s12, v6
	s_mul_i32 s13, s13, s4
	s_delay_alu instid0(SALU_CYCLE_1) | instskip(NEXT) | instid1(VALU_DEP_1)
	v_add_nc_u32_e32 v10, s13, v7
	v_cmp_gt_i32_e32 vcc_lo, s8, v10
	s_delay_alu instid0(VALU_DEP_3)
	v_mul_lo_u32 v8, v5, s8
	v_cmp_gt_i32_e64 s2, s9, v5
	s_and_b32 s2, vcc_lo, s2
	v_add_nc_u32_e32 v0, v8, v10
	s_and_saveexec_b32 s3, s2
	s_cbranch_execz .LBB2_2
; %bb.1:
	global_load_b32 v1, v0, s[10:11] scale_offset
	v_lshlrev_b32_e32 v2, 2, v9
	s_wait_loadcnt 0x0
	ds_store_b32 v2, v1
.LBB2_2:
	s_or_b32 exec_lo, exec_lo, s3
	s_wait_dscnt 0x0
	s_barrier_signal -1
	s_barrier_wait -1
	s_and_saveexec_b32 s3, s2
	s_cbranch_execz .LBB2_17
; %bb.3:
	s_load_b64 s[2:3], s[0:1], 0x10
	v_dual_ashrrev_i32 v1, 31, v0 :: v_dual_mov_b32 v3, 0
	v_mov_b32_e32 v4, 0
	s_mov_b32 s6, exec_lo
	s_wait_kmcnt 0x0
	global_load_b32 v2, v0, s[2:3] scale_offset
	s_wait_loadcnt 0x0
	v_cmpx_lt_i32_e32 -1, v2
	s_cbranch_execz .LBB2_15
; %bb.4:
	v_dual_add_nc_u32 v3, v2, v10 :: v_dual_add_nc_u32 v4, v2, v5
	v_add_nc_u32_e32 v11, v2, v7
	v_cmp_lt_u32_e64 s5, v6, v2
	v_dual_sub_nc_u32 v5, 0, v2 :: v_dual_min_i32 v10, v10, v5
	s_delay_alu instid0(VALU_DEP_4)
	v_cmp_gt_i32_e32 vcc_lo, s8, v3
	v_cmp_gt_i32_e64 s2, s9, v4
	v_lshlrev_b32_e32 v4, 2, v9
	v_cmp_le_u32_e64 s4, s4, v11
	v_dual_add_nc_u32 v9, v2, v6 :: v_dual_add_nc_u32 v8, v7, v8
	s_and_b32 s8, vcc_lo, s2
	s_not_b32 s2, s9
	v_cmp_ge_u32_e32 vcc_lo, v7, v2
	v_mul_lo_u32 v3, v2, s2
	s_or_b32 s2, s5, s4
	s_lshl_b32 s4, s12, 2
	v_cmp_ge_i32_e64 s3, v10, v2
	s_xor_b32 s5, s4, -4
	v_lshl_or_b32 v7, v2, 1, 1
	v_mad_u32 v6, v2, s5, v4
	s_xor_b32 s5, s2, -1
	v_cmp_gt_u32_e64 s2, s12, v9
	v_mov_b32_e32 v4, 0
	s_and_b32 s5, vcc_lo, s5
	v_add3_u32 v8, v8, v3, s13
	v_mov_b32_e32 v3, 0
	s_mov_b32 s7, 0
	s_and_b32 s3, s8, s3
	s_and_b32 s2, s5, s2
	s_branch .LBB2_6
.LBB2_5:                                ;   in Loop: Header=BB2_6 Depth=1
	s_or_b32 exec_lo, exec_lo, s5
	v_dual_add_nc_u32 v9, 1, v5 :: v_dual_add_nc_u32 v8, s9, v8
	v_cmp_eq_u32_e32 vcc_lo, v5, v2
	s_delay_alu instid0(VALU_DEP_2) | instskip(SKIP_1) | instid1(SALU_CYCLE_1)
	v_dual_mov_b32 v5, v9 :: v_dual_add_nc_u32 v6, s4, v6
	s_or_b32 s7, vcc_lo, s7
	s_and_not1_b32 exec_lo, exec_lo, s7
	s_cbranch_execz .LBB2_14
.LBB2_6:                                ; =>This Loop Header: Depth=1
                                        ;     Child Loop BB2_9 Depth 2
	s_delay_alu instid0(VALU_DEP_1)
	v_dual_mov_b32 v9, v6 :: v_dual_mov_b32 v10, v8
	v_mov_b32_e32 v11, v7
	s_mov_b32 s5, 0
	s_branch .LBB2_9
.LBB2_7:                                ;   in Loop: Header=BB2_9 Depth=2
	s_or_b32 exec_lo, exec_lo, s12
	v_add_nc_u32_e32 v4, 1, v4
.LBB2_8:                                ;   in Loop: Header=BB2_9 Depth=2
	s_or_b32 exec_lo, exec_lo, s8
	v_dual_add_nc_u32 v11, -1, v11 :: v_dual_add_nc_u32 v10, 1, v10
	v_add_nc_u32_e32 v9, 4, v9
	s_delay_alu instid0(VALU_DEP_2) | instskip(SKIP_1) | instid1(SALU_CYCLE_1)
	v_cmp_eq_u32_e32 vcc_lo, 0, v11
	s_or_b32 s5, vcc_lo, s5
	s_and_not1_b32 exec_lo, exec_lo, s5
	s_cbranch_execz .LBB2_5
.LBB2_9:                                ;   Parent Loop BB2_6 Depth=1
                                        ; =>  This Inner Loop Header: Depth=2
	s_and_saveexec_b32 s8, s3
	s_cbranch_execz .LBB2_8
; %bb.10:                               ;   in Loop: Header=BB2_9 Depth=2
	s_and_saveexec_b32 s12, s2
	s_delay_alu instid0(SALU_CYCLE_1)
	s_xor_b32 s12, exec_lo, s12
	s_cbranch_execz .LBB2_12
; %bb.11:                               ;   in Loop: Header=BB2_9 Depth=2
	ds_load_b32 v12, v9
	s_wait_dscnt 0x0
	v_add_f32_e32 v3, v3, v12
.LBB2_12:                               ;   in Loop: Header=BB2_9 Depth=2
	s_and_not1_saveexec_b32 s12, s12
	s_cbranch_execz .LBB2_7
; %bb.13:                               ;   in Loop: Header=BB2_9 Depth=2
	global_load_b32 v12, v10, s[10:11] scale_offset
	s_wait_loadcnt 0x0
	v_add_f32_e32 v3, v3, v12
	s_branch .LBB2_7
.LBB2_14:
	s_or_b32 exec_lo, exec_lo, s7
.LBB2_15:
	s_delay_alu instid0(SALU_CYCLE_1)
	s_or_b32 exec_lo, exec_lo, s6
	s_load_b64 s[0:1], s[0:1], 0x18
	v_cmp_ne_u32_e32 vcc_lo, 0, v4
	s_and_b32 exec_lo, exec_lo, vcc_lo
	s_cbranch_execz .LBB2_17
; %bb.16:
	v_cvt_f32_i32_e32 v2, v4
	s_wait_kmcnt 0x0
	v_lshl_add_u64 v[0:1], v[0:1], 2, s[0:1]
	s_delay_alu instid0(VALU_DEP_2) | instskip(SKIP_1) | instid1(VALU_DEP_2)
	v_div_scale_f32 v4, null, v2, v2, v3
	v_div_scale_f32 v7, vcc_lo, v3, v2, v3
	v_rcp_f32_e32 v5, v4
	v_nop
	s_delay_alu instid0(TRANS32_DEP_1) | instskip(NEXT) | instid1(VALU_DEP_1)
	v_fma_f32 v6, -v4, v5, 1.0
	v_fmac_f32_e32 v5, v6, v5
	s_delay_alu instid0(VALU_DEP_1) | instskip(NEXT) | instid1(VALU_DEP_1)
	v_mul_f32_e32 v6, v7, v5
	v_fma_f32 v8, -v4, v6, v7
	s_delay_alu instid0(VALU_DEP_1) | instskip(NEXT) | instid1(VALU_DEP_1)
	v_fmac_f32_e32 v6, v8, v5
	v_fma_f32 v4, -v4, v6, v7
	s_delay_alu instid0(VALU_DEP_1) | instskip(NEXT) | instid1(VALU_DEP_1)
	v_div_fmas_f32 v4, v4, v5, v6
	v_div_fixup_f32 v2, v4, v2, v3
	global_store_b32 v[0:1], v2, off
.LBB2_17:
	s_endpgm
	.section	.rodata,"a",@progbits
	.p2align	6, 0x0
	.amdhsa_kernel _Z9outFilteriiPKfPKiPf
		.amdhsa_group_segment_fixed_size 4096
		.amdhsa_private_segment_fixed_size 0
		.amdhsa_kernarg_size 288
		.amdhsa_user_sgpr_count 2
		.amdhsa_user_sgpr_dispatch_ptr 0
		.amdhsa_user_sgpr_queue_ptr 0
		.amdhsa_user_sgpr_kernarg_segment_ptr 1
		.amdhsa_user_sgpr_dispatch_id 0
		.amdhsa_user_sgpr_kernarg_preload_length 0
		.amdhsa_user_sgpr_kernarg_preload_offset 0
		.amdhsa_user_sgpr_private_segment_size 0
		.amdhsa_wavefront_size32 1
		.amdhsa_uses_dynamic_stack 0
		.amdhsa_enable_private_segment 0
		.amdhsa_system_sgpr_workgroup_id_x 1
		.amdhsa_system_sgpr_workgroup_id_y 1
		.amdhsa_system_sgpr_workgroup_id_z 0
		.amdhsa_system_sgpr_workgroup_info 0
		.amdhsa_system_vgpr_workitem_id 1
		.amdhsa_next_free_vgpr 13
		.amdhsa_next_free_sgpr 14
		.amdhsa_named_barrier_count 0
		.amdhsa_reserve_vcc 1
		.amdhsa_float_round_mode_32 0
		.amdhsa_float_round_mode_16_64 0
		.amdhsa_float_denorm_mode_32 3
		.amdhsa_float_denorm_mode_16_64 3
		.amdhsa_fp16_overflow 0
		.amdhsa_memory_ordered 1
		.amdhsa_forward_progress 1
		.amdhsa_inst_pref_size 7
		.amdhsa_round_robin_scheduling 0
		.amdhsa_exception_fp_ieee_invalid_op 0
		.amdhsa_exception_fp_denorm_src 0
		.amdhsa_exception_fp_ieee_div_zero 0
		.amdhsa_exception_fp_ieee_overflow 0
		.amdhsa_exception_fp_ieee_underflow 0
		.amdhsa_exception_fp_ieee_inexact 0
		.amdhsa_exception_int_div_zero 0
	.end_amdhsa_kernel
	.text
.Lfunc_end2:
	.size	_Z9outFilteriiPKfPKiPf, .Lfunc_end2-_Z9outFilteriiPKfPKiPf
                                        ; -- End function
	.set _Z9outFilteriiPKfPKiPf.num_vgpr, 13
	.set _Z9outFilteriiPKfPKiPf.num_agpr, 0
	.set _Z9outFilteriiPKfPKiPf.numbered_sgpr, 14
	.set _Z9outFilteriiPKfPKiPf.num_named_barrier, 0
	.set _Z9outFilteriiPKfPKiPf.private_seg_size, 0
	.set _Z9outFilteriiPKfPKiPf.uses_vcc, 1
	.set _Z9outFilteriiPKfPKiPf.uses_flat_scratch, 0
	.set _Z9outFilteriiPKfPKiPf.has_dyn_sized_stack, 0
	.set _Z9outFilteriiPKfPKiPf.has_recursion, 0
	.set _Z9outFilteriiPKfPKiPf.has_indirect_call, 0
	.section	.AMDGPU.csdata,"",@progbits
; Kernel info:
; codeLenInByte = 824
; TotalNumSgprs: 16
; NumVgprs: 13
; ScratchSize: 0
; MemoryBound: 0
; FloatMode: 240
; IeeeMode: 1
; LDSByteSize: 4096 bytes/workgroup (compile time only)
; SGPRBlocks: 0
; VGPRBlocks: 0
; NumSGPRsForWavesPerEU: 16
; NumVGPRsForWavesPerEU: 13
; NamedBarCnt: 0
; Occupancy: 16
; WaveLimiterHint : 0
; COMPUTE_PGM_RSRC2:SCRATCH_EN: 0
; COMPUTE_PGM_RSRC2:USER_SGPR: 2
; COMPUTE_PGM_RSRC2:TRAP_HANDLER: 0
; COMPUTE_PGM_RSRC2:TGID_X_EN: 1
; COMPUTE_PGM_RSRC2:TGID_Y_EN: 1
; COMPUTE_PGM_RSRC2:TGID_Z_EN: 0
; COMPUTE_PGM_RSRC2:TIDIG_COMP_CNT: 1
	.text
	.p2alignl 7, 3214868480
	.fill 96, 4, 3214868480
	.section	.AMDGPU.gpr_maximums,"",@progbits
	.set amdgpu.max_num_vgpr, 0
	.set amdgpu.max_num_agpr, 0
	.set amdgpu.max_num_sgpr, 0
	.text
	.type	__hip_cuid_e5a4cf4d32029662,@object ; @__hip_cuid_e5a4cf4d32029662
	.section	.bss,"aw",@nobits
	.globl	__hip_cuid_e5a4cf4d32029662
__hip_cuid_e5a4cf4d32029662:
	.byte	0                               ; 0x0
	.size	__hip_cuid_e5a4cf4d32029662, 1

	.ident	"AMD clang version 22.0.0git (https://github.com/RadeonOpenCompute/llvm-project roc-7.2.4 26084 f58b06dce1f9c15707c5f808fd002e18c2accf7e)"
	.section	".note.GNU-stack","",@progbits
	.addrsig
	.addrsig_sym __hip_cuid_e5a4cf4d32029662
	.amdgpu_metadata
---
amdhsa.kernels:
  - .args:
      - .offset:         0
        .size:           4
        .value_kind:     by_value
      - .offset:         4
        .size:           4
        .value_kind:     by_value
      - .offset:         8
        .size:           4
        .value_kind:     by_value
      - .offset:         12
        .size:           4
        .value_kind:     by_value
      - .actual_access:  read_only
        .address_space:  global
        .offset:         16
        .size:           8
        .value_kind:     global_buffer
      - .actual_access:  write_only
        .address_space:  global
        .offset:         24
        .size:           8
        .value_kind:     global_buffer
      - .address_space:  global
        .offset:         32
        .size:           8
        .value_kind:     global_buffer
      - .offset:         40
        .size:           4
        .value_kind:     hidden_block_count_x
      - .offset:         44
        .size:           4
        .value_kind:     hidden_block_count_y
      - .offset:         48
        .size:           4
        .value_kind:     hidden_block_count_z
      - .offset:         52
        .size:           2
        .value_kind:     hidden_group_size_x
      - .offset:         54
        .size:           2
        .value_kind:     hidden_group_size_y
      - .offset:         56
        .size:           2
        .value_kind:     hidden_group_size_z
      - .offset:         58
        .size:           2
        .value_kind:     hidden_remainder_x
      - .offset:         60
        .size:           2
        .value_kind:     hidden_remainder_y
      - .offset:         62
        .size:           2
        .value_kind:     hidden_remainder_z
      - .offset:         80
        .size:           8
        .value_kind:     hidden_global_offset_x
      - .offset:         88
        .size:           8
        .value_kind:     hidden_global_offset_y
      - .offset:         96
        .size:           8
        .value_kind:     hidden_global_offset_z
      - .offset:         104
        .size:           2
        .value_kind:     hidden_grid_dims
    .group_segment_fixed_size: 4096
    .kernarg_segment_align: 8
    .kernarg_segment_size: 296
    .language:       OpenCL C
    .language_version:
      - 2
      - 0
    .max_flat_workgroup_size: 1024
    .name:           _Z15smoothingFilteriiiiPKfPiPf
    .private_segment_fixed_size: 0
    .sgpr_count:     28
    .sgpr_spill_count: 0
    .symbol:         _Z15smoothingFilteriiiiPKfPiPf.kd
    .uniform_work_group_size: 1
    .uses_dynamic_stack: false
    .vgpr_count:     16
    .vgpr_spill_count: 0
    .wavefront_size: 32
  - .args:
      - .offset:         0
        .size:           4
        .value_kind:     by_value
      - .offset:         4
        .size:           4
        .value_kind:     by_value
      - .address_space:  global
        .offset:         8
        .size:           8
        .value_kind:     global_buffer
      - .actual_access:  read_only
        .address_space:  global
        .offset:         16
        .size:           8
        .value_kind:     global_buffer
      - .offset:         24
        .size:           4
        .value_kind:     hidden_block_count_x
      - .offset:         28
        .size:           4
        .value_kind:     hidden_block_count_y
      - .offset:         32
        .size:           4
        .value_kind:     hidden_block_count_z
      - .offset:         36
        .size:           2
        .value_kind:     hidden_group_size_x
      - .offset:         38
        .size:           2
        .value_kind:     hidden_group_size_y
      - .offset:         40
        .size:           2
        .value_kind:     hidden_group_size_z
      - .offset:         42
        .size:           2
        .value_kind:     hidden_remainder_x
      - .offset:         44
        .size:           2
        .value_kind:     hidden_remainder_y
      - .offset:         46
        .size:           2
        .value_kind:     hidden_remainder_z
      - .offset:         64
        .size:           8
        .value_kind:     hidden_global_offset_x
      - .offset:         72
        .size:           8
        .value_kind:     hidden_global_offset_y
      - .offset:         80
        .size:           8
        .value_kind:     hidden_global_offset_z
      - .offset:         88
        .size:           2
        .value_kind:     hidden_grid_dims
    .group_segment_fixed_size: 0
    .kernarg_segment_align: 8
    .kernarg_segment_size: 280
    .language:       OpenCL C
    .language_version:
      - 2
      - 0
    .max_flat_workgroup_size: 1024
    .name:           _Z15normalizeFilteriiPfPKf
    .private_segment_fixed_size: 0
    .sgpr_count:     12
    .sgpr_spill_count: 0
    .symbol:         _Z15normalizeFilteriiPfPKf.kd
    .uniform_work_group_size: 1
    .uses_dynamic_stack: false
    .vgpr_count:     9
    .vgpr_spill_count: 0
    .wavefront_size: 32
  - .args:
      - .offset:         0
        .size:           4
        .value_kind:     by_value
      - .offset:         4
        .size:           4
        .value_kind:     by_value
      - .actual_access:  read_only
        .address_space:  global
        .offset:         8
        .size:           8
        .value_kind:     global_buffer
      - .actual_access:  read_only
        .address_space:  global
        .offset:         16
        .size:           8
        .value_kind:     global_buffer
      - .actual_access:  write_only
        .address_space:  global
        .offset:         24
        .size:           8
        .value_kind:     global_buffer
      - .offset:         32
        .size:           4
        .value_kind:     hidden_block_count_x
      - .offset:         36
        .size:           4
        .value_kind:     hidden_block_count_y
      - .offset:         40
        .size:           4
        .value_kind:     hidden_block_count_z
      - .offset:         44
        .size:           2
        .value_kind:     hidden_group_size_x
      - .offset:         46
        .size:           2
        .value_kind:     hidden_group_size_y
      - .offset:         48
        .size:           2
        .value_kind:     hidden_group_size_z
      - .offset:         50
        .size:           2
        .value_kind:     hidden_remainder_x
      - .offset:         52
        .size:           2
        .value_kind:     hidden_remainder_y
      - .offset:         54
        .size:           2
        .value_kind:     hidden_remainder_z
      - .offset:         72
        .size:           8
        .value_kind:     hidden_global_offset_x
      - .offset:         80
        .size:           8
        .value_kind:     hidden_global_offset_y
      - .offset:         88
        .size:           8
        .value_kind:     hidden_global_offset_z
      - .offset:         96
        .size:           2
        .value_kind:     hidden_grid_dims
    .group_segment_fixed_size: 4096
    .kernarg_segment_align: 8
    .kernarg_segment_size: 288
    .language:       OpenCL C
    .language_version:
      - 2
      - 0
    .max_flat_workgroup_size: 1024
    .name:           _Z9outFilteriiPKfPKiPf
    .private_segment_fixed_size: 0
    .sgpr_count:     16
    .sgpr_spill_count: 0
    .symbol:         _Z9outFilteriiPKfPKiPf.kd
    .uniform_work_group_size: 1
    .uses_dynamic_stack: false
    .vgpr_count:     13
    .vgpr_spill_count: 0
    .wavefront_size: 32
amdhsa.target:   amdgcn-amd-amdhsa--gfx1250
amdhsa.version:
  - 1
  - 2
...

	.end_amdgpu_metadata
